;; amdgpu-corpus repo=ROCm/rocFFT kind=compiled arch=gfx1201 opt=O3
	.text
	.amdgcn_target "amdgcn-amd-amdhsa--gfx1201"
	.amdhsa_code_object_version 6
	.protected	fft_rtc_back_len280_factors_8_5_7_wgs_392_tpt_56_sp_ip_CI_sbcc_twdbase6_3step ; -- Begin function fft_rtc_back_len280_factors_8_5_7_wgs_392_tpt_56_sp_ip_CI_sbcc_twdbase6_3step
	.globl	fft_rtc_back_len280_factors_8_5_7_wgs_392_tpt_56_sp_ip_CI_sbcc_twdbase6_3step
	.p2align	8
	.type	fft_rtc_back_len280_factors_8_5_7_wgs_392_tpt_56_sp_ip_CI_sbcc_twdbase6_3step,@function
fft_rtc_back_len280_factors_8_5_7_wgs_392_tpt_56_sp_ip_CI_sbcc_twdbase6_3step: ; @fft_rtc_back_len280_factors_8_5_7_wgs_392_tpt_56_sp_ip_CI_sbcc_twdbase6_3step
; %bb.0:
	s_load_b256 s[4:11], s[0:1], 0x8
	s_mov_b32 s18, ttmp9
	s_mov_b32 s2, exec_lo
	v_cmpx_gt_u32_e32 0xc0, v0
	s_cbranch_execz .LBB0_2
; %bb.1:
	v_lshlrev_b32_e32 v3, 3, v0
	s_wait_kmcnt 0x0
	global_load_b64 v[1:2], v3, s[4:5]
	v_add_nc_u32_e32 v3, 0, v3
	s_wait_loadcnt 0x0
	ds_store_b64 v3, v[1:2] offset:15680
.LBB0_2:
	s_or_b32 exec_lo, exec_lo, s2
	s_mov_b32 s19, 0
	s_mov_b32 s2, 0x92481000
	s_movk_i32 s3, 0x64
	s_wait_kmcnt 0x0
	s_mov_b32 s4, s19
	s_mov_b32 s5, s19
	s_mov_b32 s17, s19
	s_add_nc_u64 s[4:5], s[4:5], s[2:3]
	s_load_b64 s[2:3], s[8:9], 0x8
	s_add_co_i32 s5, s5, 0x249248c0
	s_mov_b64 s[24:25], 0
	s_mul_u64 s[12:13], s[4:5], -7
	s_delay_alu instid0(SALU_CYCLE_1)
	s_mul_hi_u32 s15, s4, s13
	s_mul_i32 s14, s4, s13
	s_mul_hi_u32 s16, s4, s12
	s_mul_hi_u32 s20, s5, s12
	s_mul_i32 s12, s5, s12
	s_add_nc_u64 s[14:15], s[16:17], s[14:15]
	s_mul_hi_u32 s16, s5, s13
	s_add_co_u32 s12, s14, s12
	s_add_co_ci_u32 s12, s15, s20
	s_add_co_ci_u32 s15, s16, 0
	s_mul_i32 s14, s5, s13
	s_mov_b32 s13, s19
	s_delay_alu instid0(SALU_CYCLE_1) | instskip(NEXT) | instid1(SALU_CYCLE_1)
	s_add_nc_u64 s[12:13], s[12:13], s[14:15]
	v_add_co_u32 v1, s4, s4, s12
	s_delay_alu instid0(VALU_DEP_1)
	s_cmp_lg_u32 s4, 0
	s_wait_kmcnt 0x0
	s_add_nc_u64 s[14:15], s[2:3], -1
	s_add_co_ci_u32 s17, s5, s13
	v_readfirstlane_b32 s16, v1
	s_mul_hi_u32 s5, s14, s17
	s_mul_i32 s4, s14, s17
	s_mov_b32 s13, s19
	s_delay_alu instid0(VALU_DEP_1)
	s_mul_hi_u32 s12, s14, s16
	s_wait_alu 0xfffe
	s_add_nc_u64 s[4:5], s[12:13], s[4:5]
	s_mul_i32 s13, s15, s16
	s_mul_hi_u32 s16, s15, s16
	s_mul_hi_u32 s12, s15, s17
	s_wait_alu 0xfffe
	s_add_co_u32 s4, s4, s13
	s_add_co_ci_u32 s4, s5, s16
	s_add_co_ci_u32 s13, s12, 0
	s_mul_i32 s12, s15, s17
	s_mov_b32 s5, s19
	s_wait_alu 0xfffe
	s_add_nc_u64 s[4:5], s[4:5], s[12:13]
	s_wait_alu 0xfffe
	s_mul_u64 s[12:13], s[4:5], 7
	s_wait_alu 0xfffe
	v_sub_co_u32 v1, s12, s14, s12
	s_delay_alu instid0(VALU_DEP_1) | instskip(SKIP_1) | instid1(VALU_DEP_1)
	s_cmp_lg_u32 s12, 0
	s_sub_co_ci_u32 s16, s15, s13
	v_sub_co_u32 v2, s14, v1, 7
	s_delay_alu instid0(VALU_DEP_1) | instskip(SKIP_2) | instid1(VALU_DEP_2)
	s_cmp_lg_u32 s14, 0
	v_readfirstlane_b32 s20, v1
	s_sub_co_ci_u32 s14, s16, 0
	v_readfirstlane_b32 s12, v2
	s_delay_alu instid0(VALU_DEP_1)
	s_cmp_gt_u32 s12, 6
	s_add_nc_u64 s[12:13], s[4:5], 1
	s_cselect_b32 s17, -1, 0
	s_wait_alu 0xfffe
	s_cmp_eq_u32 s14, 0
	s_add_nc_u64 s[14:15], s[4:5], 2
	s_cselect_b32 s17, s17, -1
	s_delay_alu instid0(SALU_CYCLE_1)
	s_cmp_lg_u32 s17, 0
	s_wait_alu 0xfffe
	s_cselect_b32 s12, s14, s12
	s_cselect_b32 s13, s15, s13
	s_cmp_gt_u32 s20, 6
	s_cselect_b32 s14, -1, 0
	s_cmp_eq_u32 s16, 0
	s_wait_alu 0xfffe
	s_cselect_b32 s14, s14, -1
	s_wait_alu 0xfffe
	s_cmp_lg_u32 s14, 0
	s_cselect_b32 s5, s13, s5
	s_cselect_b32 s4, s12, s4
	s_wait_alu 0xfffe
	s_add_nc_u64 s[20:21], s[4:5], 1
	s_delay_alu instid0(SALU_CYCLE_1) | instskip(NEXT) | instid1(VALU_DEP_1)
	v_cmp_lt_u64_e64 s4, s[18:19], s[20:21]
	s_and_b32 vcc_lo, exec_lo, s4
	s_cbranch_vccnz .LBB0_4
; %bb.3:
	v_cvt_f32_u32_e32 v1, s20
	s_sub_co_i32 s5, 0, s20
	s_mov_b32 s25, s19
	s_delay_alu instid0(VALU_DEP_1) | instskip(NEXT) | instid1(TRANS32_DEP_1)
	v_rcp_iflag_f32_e32 v1, v1
	v_mul_f32_e32 v1, 0x4f7ffffe, v1
	s_delay_alu instid0(VALU_DEP_1) | instskip(NEXT) | instid1(VALU_DEP_1)
	v_cvt_u32_f32_e32 v1, v1
	v_readfirstlane_b32 s4, v1
	s_wait_alu 0xfffe
	s_delay_alu instid0(VALU_DEP_1)
	s_mul_i32 s5, s5, s4
	s_wait_alu 0xfffe
	s_mul_hi_u32 s5, s4, s5
	s_wait_alu 0xfffe
	s_add_co_i32 s4, s4, s5
	s_wait_alu 0xfffe
	s_mul_hi_u32 s4, s18, s4
	s_wait_alu 0xfffe
	s_mul_i32 s5, s4, s20
	s_add_co_i32 s12, s4, 1
	s_wait_alu 0xfffe
	s_sub_co_i32 s5, s18, s5
	s_wait_alu 0xfffe
	s_sub_co_i32 s13, s5, s20
	s_cmp_ge_u32 s5, s20
	s_cselect_b32 s4, s12, s4
	s_wait_alu 0xfffe
	s_cselect_b32 s5, s13, s5
	s_add_co_i32 s12, s4, 1
	s_wait_alu 0xfffe
	s_cmp_ge_u32 s5, s20
	s_cselect_b32 s24, s12, s4
.LBB0_4:
	s_load_b128 s[12:15], s[10:11], 0x0
	s_load_b64 s[4:5], s[0:1], 0x0
	v_cmp_lt_u64_e64 s22, s[6:7], 3
	s_mul_u64 s[16:17], s[24:25], s[20:21]
	s_delay_alu instid0(SALU_CYCLE_1) | instskip(NEXT) | instid1(SALU_CYCLE_1)
	s_sub_nc_u64 s[16:17], s[18:19], s[16:17]
	s_mul_u64 s[16:17], s[16:17], 7
	s_delay_alu instid0(VALU_DEP_1)
	s_and_b32 vcc_lo, exec_lo, s22
	s_wait_kmcnt 0x0
	s_mul_u64 s[22:23], s[14:15], s[16:17]
	s_cbranch_vccnz .LBB0_14
; %bb.5:
	s_add_nc_u64 s[26:27], s[10:11], 16
	s_add_nc_u64 s[8:9], s[8:9], 16
	s_mov_b64 s[28:29], 2
	s_mov_b32 s30, 0
.LBB0_6:                                ; =>This Inner Loop Header: Depth=1
	s_load_b64 s[34:35], s[8:9], 0x0
                                        ; implicit-def: $sgpr38_sgpr39
	s_wait_kmcnt 0x0
	s_or_b64 s[36:37], s[24:25], s[34:35]
	s_delay_alu instid0(SALU_CYCLE_1)
	s_mov_b32 s31, s37
	s_mov_b32 s37, -1
	s_wait_alu 0xfffe
	s_cmp_lg_u64 s[30:31], 0
	s_cbranch_scc0 .LBB0_8
; %bb.7:                                ;   in Loop: Header=BB0_6 Depth=1
	s_cvt_f32_u32 s31, s34
	s_cvt_f32_u32 s33, s35
	s_sub_nc_u64 s[40:41], 0, s[34:35]
	s_mov_b32 s37, 0
	s_mov_b32 s45, s30
	s_wait_alu 0xfffe
	s_fmamk_f32 s31, s33, 0x4f800000, s31
	s_wait_alu 0xfffe
	s_delay_alu instid0(SALU_CYCLE_2) | instskip(NEXT) | instid1(TRANS32_DEP_1)
	v_s_rcp_f32 s31, s31
	s_mul_f32 s31, s31, 0x5f7ffffc
	s_wait_alu 0xfffe
	s_delay_alu instid0(SALU_CYCLE_2) | instskip(NEXT) | instid1(SALU_CYCLE_3)
	s_mul_f32 s33, s31, 0x2f800000
	s_trunc_f32 s33, s33
	s_delay_alu instid0(SALU_CYCLE_3) | instskip(SKIP_2) | instid1(SALU_CYCLE_1)
	s_fmamk_f32 s31, s33, 0xcf800000, s31
	s_cvt_u32_f32 s39, s33
	s_wait_alu 0xfffe
	s_cvt_u32_f32 s38, s31
	s_wait_alu 0xfffe
	s_delay_alu instid0(SALU_CYCLE_2)
	s_mul_u64 s[42:43], s[40:41], s[38:39]
	s_wait_alu 0xfffe
	s_mul_hi_u32 s47, s38, s43
	s_mul_i32 s46, s38, s43
	s_mul_hi_u32 s36, s38, s42
	s_mul_i32 s33, s39, s42
	s_add_nc_u64 s[46:47], s[36:37], s[46:47]
	s_mul_hi_u32 s31, s39, s42
	s_mul_hi_u32 s48, s39, s43
	s_add_co_u32 s33, s46, s33
	s_wait_alu 0xfffe
	s_add_co_ci_u32 s44, s47, s31
	s_mul_i32 s42, s39, s43
	s_add_co_ci_u32 s43, s48, 0
	s_wait_alu 0xfffe
	s_add_nc_u64 s[42:43], s[44:45], s[42:43]
	s_wait_alu 0xfffe
	v_add_co_u32 v1, s31, s38, s42
	s_delay_alu instid0(VALU_DEP_1) | instskip(SKIP_1) | instid1(VALU_DEP_1)
	s_cmp_lg_u32 s31, 0
	s_add_co_ci_u32 s39, s39, s43
	v_readfirstlane_b32 s38, v1
	s_mov_b32 s43, s30
	s_wait_alu 0xfffe
	s_delay_alu instid0(VALU_DEP_1)
	s_mul_u64 s[40:41], s[40:41], s[38:39]
	s_wait_alu 0xfffe
	s_mul_hi_u32 s45, s38, s41
	s_mul_i32 s44, s38, s41
	s_mul_hi_u32 s36, s38, s40
	s_mul_i32 s33, s39, s40
	s_add_nc_u64 s[44:45], s[36:37], s[44:45]
	s_mul_hi_u32 s31, s39, s40
	s_mul_hi_u32 s38, s39, s41
	s_add_co_u32 s33, s44, s33
	s_wait_alu 0xfffe
	s_add_co_ci_u32 s42, s45, s31
	s_mul_i32 s40, s39, s41
	s_add_co_ci_u32 s41, s38, 0
	s_wait_alu 0xfffe
	s_add_nc_u64 s[40:41], s[42:43], s[40:41]
	s_wait_alu 0xfffe
	v_add_co_u32 v1, s31, v1, s40
	s_delay_alu instid0(VALU_DEP_1) | instskip(SKIP_1) | instid1(VALU_DEP_1)
	s_cmp_lg_u32 s31, 0
	s_add_co_ci_u32 s31, s39, s41
	v_readfirstlane_b32 s33, v1
	s_wait_alu 0xfffe
	s_mul_hi_u32 s39, s24, s31
	s_mul_i32 s38, s24, s31
	s_mul_hi_u32 s41, s25, s31
	s_mul_i32 s40, s25, s31
	;; [unrolled: 2-line block ×3, first 2 shown]
	s_wait_alu 0xfffe
	s_add_nc_u64 s[38:39], s[36:37], s[38:39]
	s_mul_hi_u32 s33, s25, s33
	s_wait_alu 0xfffe
	s_add_co_u32 s31, s38, s31
	s_add_co_ci_u32 s42, s39, s33
	s_add_co_ci_u32 s41, s41, 0
	s_wait_alu 0xfffe
	s_add_nc_u64 s[38:39], s[42:43], s[40:41]
	s_wait_alu 0xfffe
	s_mul_u64 s[40:41], s[34:35], s[38:39]
	s_add_nc_u64 s[42:43], s[38:39], 1
	s_wait_alu 0xfffe
	v_sub_co_u32 v1, s31, s24, s40
	s_sub_co_i32 s33, s25, s41
	s_cmp_lg_u32 s31, 0
	s_add_nc_u64 s[44:45], s[38:39], 2
	s_delay_alu instid0(VALU_DEP_1) | instskip(SKIP_2) | instid1(VALU_DEP_1)
	v_sub_co_u32 v2, s36, v1, s34
	s_sub_co_ci_u32 s33, s33, s35
	s_cmp_lg_u32 s36, 0
	v_readfirstlane_b32 s36, v2
	s_sub_co_ci_u32 s33, s33, 0
	s_delay_alu instid0(SALU_CYCLE_1) | instskip(SKIP_1) | instid1(VALU_DEP_1)
	s_cmp_ge_u32 s33, s35
	s_cselect_b32 s40, -1, 0
	s_cmp_ge_u32 s36, s34
	s_cselect_b32 s36, -1, 0
	s_cmp_eq_u32 s33, s35
	s_wait_alu 0xfffe
	s_cselect_b32 s33, s36, s40
	s_delay_alu instid0(SALU_CYCLE_1)
	s_cmp_lg_u32 s33, 0
	s_cselect_b32 s33, s44, s42
	s_cselect_b32 s36, s45, s43
	s_cmp_lg_u32 s31, 0
	v_readfirstlane_b32 s31, v1
	s_sub_co_ci_u32 s40, s25, s41
	s_wait_alu 0xfffe
	s_cmp_ge_u32 s40, s35
	s_cselect_b32 s41, -1, 0
	s_cmp_ge_u32 s31, s34
	s_cselect_b32 s31, -1, 0
	s_cmp_eq_u32 s40, s35
	s_wait_alu 0xfffe
	s_cselect_b32 s31, s31, s41
	s_wait_alu 0xfffe
	s_cmp_lg_u32 s31, 0
	s_cselect_b32 s39, s36, s39
	s_cselect_b32 s38, s33, s38
.LBB0_8:                                ;   in Loop: Header=BB0_6 Depth=1
	s_and_not1_b32 vcc_lo, exec_lo, s37
	s_cbranch_vccnz .LBB0_10
; %bb.9:                                ;   in Loop: Header=BB0_6 Depth=1
	v_cvt_f32_u32_e32 v1, s34
	s_sub_co_i32 s33, 0, s34
	s_mov_b32 s39, s30
	s_delay_alu instid0(VALU_DEP_1) | instskip(NEXT) | instid1(TRANS32_DEP_1)
	v_rcp_iflag_f32_e32 v1, v1
	v_mul_f32_e32 v1, 0x4f7ffffe, v1
	s_delay_alu instid0(VALU_DEP_1) | instskip(NEXT) | instid1(VALU_DEP_1)
	v_cvt_u32_f32_e32 v1, v1
	v_readfirstlane_b32 s31, v1
	s_delay_alu instid0(VALU_DEP_1) | instskip(NEXT) | instid1(SALU_CYCLE_1)
	s_mul_i32 s33, s33, s31
	s_mul_hi_u32 s33, s31, s33
	s_delay_alu instid0(SALU_CYCLE_1)
	s_add_co_i32 s31, s31, s33
	s_wait_alu 0xfffe
	s_mul_hi_u32 s31, s24, s31
	s_wait_alu 0xfffe
	s_mul_i32 s33, s31, s34
	s_add_co_i32 s36, s31, 1
	s_sub_co_i32 s33, s24, s33
	s_delay_alu instid0(SALU_CYCLE_1)
	s_sub_co_i32 s37, s33, s34
	s_cmp_ge_u32 s33, s34
	s_cselect_b32 s31, s36, s31
	s_cselect_b32 s33, s37, s33
	s_wait_alu 0xfffe
	s_add_co_i32 s36, s31, 1
	s_cmp_ge_u32 s33, s34
	s_cselect_b32 s38, s36, s31
.LBB0_10:                               ;   in Loop: Header=BB0_6 Depth=1
	s_load_b64 s[36:37], s[26:27], 0x0
	s_add_nc_u64 s[28:29], s[28:29], 1
	s_mul_u64 s[20:21], s[34:35], s[20:21]
	s_wait_alu 0xfffe
	v_cmp_ge_u64_e64 s31, s[28:29], s[6:7]
	s_mul_u64 s[34:35], s[38:39], s[34:35]
	s_add_nc_u64 s[26:27], s[26:27], 8
	s_wait_alu 0xfffe
	s_sub_nc_u64 s[24:25], s[24:25], s[34:35]
	s_add_nc_u64 s[8:9], s[8:9], 8
	s_and_b32 vcc_lo, exec_lo, s31
	s_wait_kmcnt 0x0
	s_wait_alu 0xfffe
	s_mul_u64 s[24:25], s[36:37], s[24:25]
	s_wait_alu 0xfffe
	s_add_nc_u64 s[22:23], s[24:25], s[22:23]
	s_cbranch_vccnz .LBB0_12
; %bb.11:                               ;   in Loop: Header=BB0_6 Depth=1
	s_mov_b64 s[24:25], s[38:39]
	s_branch .LBB0_6
.LBB0_12:
	v_cmp_lt_u64_e64 s8, s[18:19], s[20:21]
	s_mov_b64 s[24:25], 0
	s_delay_alu instid0(VALU_DEP_1)
	s_and_b32 vcc_lo, exec_lo, s8
	s_cbranch_vccnz .LBB0_14
; %bb.13:
	v_cvt_f32_u32_e32 v1, s20
	s_sub_co_i32 s9, 0, s20
	s_mov_b32 s25, 0
	s_delay_alu instid0(VALU_DEP_1) | instskip(NEXT) | instid1(TRANS32_DEP_1)
	v_rcp_iflag_f32_e32 v1, v1
	v_mul_f32_e32 v1, 0x4f7ffffe, v1
	s_delay_alu instid0(VALU_DEP_1) | instskip(NEXT) | instid1(VALU_DEP_1)
	v_cvt_u32_f32_e32 v1, v1
	v_readfirstlane_b32 s8, v1
	s_delay_alu instid0(VALU_DEP_1) | instskip(NEXT) | instid1(SALU_CYCLE_1)
	s_mul_i32 s9, s9, s8
	s_mul_hi_u32 s9, s8, s9
	s_delay_alu instid0(SALU_CYCLE_1) | instskip(NEXT) | instid1(SALU_CYCLE_1)
	s_add_co_i32 s8, s8, s9
	s_mul_hi_u32 s8, s18, s8
	s_delay_alu instid0(SALU_CYCLE_1) | instskip(NEXT) | instid1(SALU_CYCLE_1)
	s_mul_i32 s9, s8, s20
	s_sub_co_i32 s9, s18, s9
	s_add_co_i32 s18, s8, 1
	s_sub_co_i32 s19, s9, s20
	s_cmp_ge_u32 s9, s20
	s_wait_alu 0xfffe
	s_cselect_b32 s8, s18, s8
	s_cselect_b32 s9, s19, s9
	s_add_co_i32 s18, s8, 1
	s_cmp_ge_u32 s9, s20
	s_wait_alu 0xfffe
	s_cselect_b32 s24, s18, s8
.LBB0_14:
	v_mul_hi_u32 v58, 0x24924925, v0
	s_lshl_b64 s[6:7], s[6:7], 3
	s_load_b64 s[0:1], s[0:1], 0x58
	s_add_nc_u64 s[6:7], s[10:11], s[6:7]
	s_add_nc_u64 s[8:9], s[16:17], 7
	s_load_b64 s[6:7], s[6:7], 0x0
	v_cmp_le_u64_e64 s8, s[8:9], s[2:3]
	s_delay_alu instid0(VALU_DEP_2)
	v_mul_u32_u24_e32 v1, 7, v58
	v_lshlrev_b32_e32 v62, 3, v58
	v_add_nc_u32_e32 v59, 56, v58
	v_add_nc_u32_e32 v60, 0x70, v58
	;; [unrolled: 1-line block ×3, first 2 shown]
	v_sub_nc_u32_e32 v61, v0, v1
	v_add_nc_u32_e32 v56, 0xe0, v58
	s_delay_alu instid0(VALU_DEP_2) | instskip(NEXT) | instid1(VALU_DEP_1)
	v_add_co_u32 v1, s10, s16, v61
	v_add_co_ci_u32_e64 v2, null, s17, 0, s10
	v_mul_lo_u32 v63, 0x8c0, v61
	s_delay_alu instid0(VALU_DEP_2)
	v_cmp_gt_u64_e32 vcc_lo, s[2:3], v[1:2]
	s_wait_kmcnt 0x0
	s_mul_u64 s[2:3], s[6:7], s[24:25]
	s_wait_alu 0xfffe
	s_add_nc_u64 s[2:3], s[2:3], s[22:23]
	s_or_b32 s6, s8, vcc_lo
	s_wait_alu 0xfffe
	s_and_saveexec_b32 s7, s6
	s_cbranch_execz .LBB0_16
; %bb.15:
	v_mad_co_u64_u32 v[1:2], null, s14, v61, 0
	v_mad_co_u64_u32 v[3:4], null, s12, v58, 0
	v_mad_co_u64_u32 v[5:6], null, s12, v59, 0
	v_mad_co_u64_u32 v[10:11], null, s12, v57, 0
	s_lshl_b64 s[8:9], s[2:3], 3
	v_mad_co_u64_u32 v[12:13], null, s12, v56, 0
	s_delay_alu instid0(VALU_DEP_4) | instskip(SKIP_4) | instid1(VALU_DEP_3)
	v_mad_co_u64_u32 v[7:8], null, s15, v61, v[2:3]
	v_mad_co_u64_u32 v[8:9], null, s12, v60, 0
	;; [unrolled: 1-line block ×3, first 2 shown]
	s_wait_alu 0xfffe
	s_add_nc_u64 s[8:9], s[0:1], s[8:9]
	v_mov_b32_e32 v2, v7
	v_mad_co_u64_u32 v[6:7], null, s13, v59, v[6:7]
	s_delay_alu instid0(VALU_DEP_4) | instskip(NEXT) | instid1(VALU_DEP_3)
	v_mov_b32_e32 v4, v9
	v_lshlrev_b64_e32 v[1:2], 3, v[1:2]
	s_delay_alu instid0(VALU_DEP_2) | instskip(SKIP_2) | instid1(VALU_DEP_3)
	v_mad_co_u64_u32 v[15:16], null, s13, v60, v[4:5]
	v_mov_b32_e32 v4, v14
	s_wait_alu 0xfffe
	v_add_co_u32 v16, vcc_lo, s8, v1
	s_delay_alu instid0(VALU_DEP_4) | instskip(NEXT) | instid1(VALU_DEP_3)
	v_add_co_ci_u32_e32 v17, vcc_lo, s9, v2, vcc_lo
	v_lshlrev_b64_e32 v[2:3], 3, v[3:4]
	v_mov_b32_e32 v1, v11
	v_mov_b32_e32 v9, v15
	v_lshlrev_b64_e32 v[4:5], 3, v[5:6]
	s_delay_alu instid0(VALU_DEP_3)
	v_mad_co_u64_u32 v[14:15], null, s13, v57, v[1:2]
	v_mov_b32_e32 v1, v13
	v_add_co_u32 v2, vcc_lo, v16, v2
	s_wait_alu 0xfffd
	v_add_co_ci_u32_e32 v3, vcc_lo, v17, v3, vcc_lo
	v_add_co_u32 v4, vcc_lo, v16, v4
	s_delay_alu instid0(VALU_DEP_3) | instskip(SKIP_4) | instid1(VALU_DEP_3)
	v_mad_co_u64_u32 v[6:7], null, s13, v56, v[1:2]
	v_mov_b32_e32 v11, v14
	v_lshlrev_b64_e32 v[7:8], 3, v[8:9]
	s_wait_alu 0xfffd
	v_add_co_ci_u32_e32 v5, vcc_lo, v17, v5, vcc_lo
	v_lshlrev_b64_e32 v[9:10], 3, v[10:11]
	v_mov_b32_e32 v13, v6
	s_delay_alu instid0(VALU_DEP_4) | instskip(SKIP_2) | instid1(VALU_DEP_3)
	v_add_co_u32 v6, vcc_lo, v16, v7
	s_wait_alu 0xfffd
	v_add_co_ci_u32_e32 v7, vcc_lo, v17, v8, vcc_lo
	v_lshlrev_b64_e32 v[11:12], 3, v[12:13]
	v_add_co_u32 v8, vcc_lo, v16, v9
	s_wait_alu 0xfffd
	v_add_co_ci_u32_e32 v9, vcc_lo, v17, v10, vcc_lo
	s_delay_alu instid0(VALU_DEP_3)
	v_add_co_u32 v10, vcc_lo, v16, v11
	s_wait_alu 0xfffd
	v_add_co_ci_u32_e32 v11, vcc_lo, v17, v12, vcc_lo
	s_clause 0x4
	global_load_b64 v[1:2], v[2:3], off
	global_load_b64 v[3:4], v[4:5], off
	;; [unrolled: 1-line block ×5, first 2 shown]
	v_add3_u32 v11, 0, v63, v62
	s_wait_loadcnt 0x3
	ds_store_2addr_b64 v11, v[1:2], v[3:4] offset1:56
	s_wait_loadcnt 0x1
	ds_store_2addr_b64 v11, v[5:6], v[7:8] offset0:112 offset1:168
	s_wait_loadcnt 0x0
	ds_store_b64 v11, v[9:10] offset:1792
.LBB0_16:
	s_wait_alu 0xfffe
	s_or_b32 exec_lo, exec_lo, s7
	s_mov_b32 s8, 0
	s_mov_b32 s10, 0x92481000
	s_movk_i32 s11, 0x64
	s_wait_alu 0xfffe
	s_mov_b32 s9, s8
	s_mov_b32 s23, s8
	s_wait_alu 0xfffe
	s_add_nc_u64 s[10:11], s[8:9], s[10:11]
	v_mul_hi_u32 v5, 0x4924925, v0
	s_wait_alu 0xfffe
	s_add_co_i32 s11, s11, 0x249248c0
	global_wb scope:SCOPE_SE
	s_wait_dscnt 0x0
	s_wait_alu 0xfffe
	s_mul_u64 s[18:19], s[10:11], -7
	s_barrier_signal -1
	s_wait_alu 0xfffe
	s_mul_hi_u32 s21, s10, s19
	s_mul_i32 s20, s10, s19
	s_mul_hi_u32 s22, s10, s18
	s_mul_i32 s9, s11, s18
	s_wait_alu 0xfffe
	s_add_nc_u64 s[20:21], s[22:23], s[20:21]
	s_mul_hi_u32 s7, s11, s18
	s_mul_hi_u32 s22, s11, s19
	s_wait_alu 0xfffe
	s_add_co_u32 s9, s20, s9
	s_add_co_ci_u32 s18, s21, s7
	s_add_co_ci_u32 s21, s22, 0
	s_mul_i32 s20, s11, s19
	s_mov_b32 s19, s8
	s_barrier_wait -1
	s_wait_alu 0xfffe
	s_add_nc_u64 s[8:9], s[18:19], s[20:21]
	global_inv scope:SCOPE_SE
	s_wait_alu 0xfffe
	v_add_co_u32 v3, s7, s10, s8
	s_delay_alu instid0(VALU_DEP_1) | instskip(SKIP_4) | instid1(VALU_DEP_2)
	s_cmp_lg_u32 s7, 0
	v_add_co_u32 v14, s7, s16, v5
	s_wait_alu 0xf1ff
	v_add_co_ci_u32_e64 v6, null, s17, 0, s7
	s_add_co_ci_u32 s7, s11, s9
	v_mul_hi_u32 v7, v14, v3
	s_wait_alu 0xfffe
	v_mad_co_u64_u32 v[1:2], null, v14, s7, 0
	v_mad_co_u64_u32 v[3:4], null, v6, v3, 0
	v_mul_u32_u24_e32 v5, 56, v5
	s_delay_alu instid0(VALU_DEP_3) | instskip(SKIP_1) | instid1(VALU_DEP_4)
	v_add_co_u32 v7, vcc_lo, v7, v1
	s_wait_alu 0xfffd
	v_add_co_ci_u32_e32 v8, vcc_lo, 0, v2, vcc_lo
	v_mad_co_u64_u32 v[1:2], null, v6, s7, 0
	s_delay_alu instid0(VALU_DEP_3) | instskip(SKIP_1) | instid1(VALU_DEP_3)
	v_add_co_u32 v3, vcc_lo, v7, v3
	s_wait_alu 0xfffd
	v_add_co_ci_u32_e32 v3, vcc_lo, v8, v4, vcc_lo
	v_sub_nc_u32_e32 v15, v0, v5
	s_mov_b32 s7, exec_lo
	s_wait_alu 0xfffd
	s_delay_alu instid0(VALU_DEP_4) | instskip(SKIP_2) | instid1(VALU_DEP_2)
	v_add_co_ci_u32_e32 v2, vcc_lo, 0, v2, vcc_lo
	v_add_co_u32 v1, vcc_lo, v3, v1
	s_wait_alu 0xfffd
	v_add_co_ci_u32_e32 v3, vcc_lo, 0, v2, vcc_lo
	s_delay_alu instid0(VALU_DEP_2) | instskip(NEXT) | instid1(VALU_DEP_1)
	v_mad_co_u64_u32 v[1:2], null, v1, 7, 0
	v_mad_co_u64_u32 v[2:3], null, v3, 7, v[2:3]
	s_delay_alu instid0(VALU_DEP_2) | instskip(SKIP_1) | instid1(VALU_DEP_2)
	v_sub_co_u32 v1, vcc_lo, v14, v1
	s_wait_alu 0xfffd
	v_sub_co_ci_u32_e32 v2, vcc_lo, v6, v2, vcc_lo
	s_delay_alu instid0(VALU_DEP_2) | instskip(SKIP_1) | instid1(VALU_DEP_2)
	v_sub_co_u32 v3, vcc_lo, v1, 7
	s_wait_alu 0xfffd
	v_subrev_co_ci_u32_e32 v4, vcc_lo, 0, v2, vcc_lo
	s_delay_alu instid0(VALU_DEP_2)
	v_cmp_lt_u32_e32 vcc_lo, 6, v3
	s_wait_alu 0xfffd
	v_cndmask_b32_e64 v6, 0, -1, vcc_lo
	v_cmp_lt_u32_e32 vcc_lo, 6, v1
	s_wait_alu 0xfffd
	v_cndmask_b32_e64 v7, 0, -1, vcc_lo
	v_cmp_eq_u32_e32 vcc_lo, 0, v4
	s_wait_alu 0xfffd
	v_cndmask_b32_e32 v4, -1, v6, vcc_lo
	v_cmp_eq_u32_e32 vcc_lo, 0, v2
	v_add_nc_u32_e32 v6, -7, v3
	s_wait_alu 0xfffd
	v_cndmask_b32_e32 v2, -1, v7, vcc_lo
	v_cmp_ne_u32_e32 vcc_lo, 0, v4
	s_wait_alu 0xfffd
	v_cndmask_b32_e32 v3, v3, v6, vcc_lo
	s_delay_alu instid0(VALU_DEP_3) | instskip(SKIP_1) | instid1(VALU_DEP_2)
	v_cmp_ne_u32_e32 vcc_lo, 0, v2
	s_wait_alu 0xfffd
	v_cndmask_b32_e32 v0, v1, v3, vcc_lo
	v_lshlrev_b32_e32 v1, 3, v15
	s_delay_alu instid0(VALU_DEP_2) | instskip(NEXT) | instid1(VALU_DEP_2)
	v_mul_u32_u24_e32 v2, 0x118, v0
	v_add_nc_u32_e32 v0, 0, v1
	s_delay_alu instid0(VALU_DEP_2) | instskip(NEXT) | instid1(VALU_DEP_1)
	v_lshlrev_b32_e32 v2, 3, v2
	v_add_nc_u32_e32 v64, v0, v2
	v_add3_u32 v65, 0, v2, v1
	ds_load_2addr_b64 v[4:7], v64 offset0:105 offset1:140
	ds_load_b64 v[12:13], v65
	ds_load_2addr_b64 v[8:11], v64 offset0:35 offset1:70
	ds_load_2addr_b64 v[16:19], v64 offset0:175 offset1:210
	ds_load_b64 v[20:21], v64 offset:1960
	global_wb scope:SCOPE_SE
	s_wait_dscnt 0x0
	s_barrier_signal -1
	s_barrier_wait -1
	global_inv scope:SCOPE_SE
	v_sub_f32_e32 v23, v13, v7
	v_dual_sub_f32 v7, v10, v18 :: v_dual_sub_f32 v18, v11, v19
	v_sub_f32_e32 v24, v9, v17
	v_sub_f32_e32 v17, v5, v21
	;; [unrolled: 1-line block ×4, first 2 shown]
	v_fma_f32 v6, v13, 2.0, -v23
	v_fma_f32 v13, v9, 2.0, -v24
	;; [unrolled: 1-line block ×3, first 2 shown]
	v_add_f32_e32 v17, v19, v17
	v_fma_f32 v1, v12, 2.0, -v22
	v_fma_f32 v10, v10, 2.0, -v7
	;; [unrolled: 1-line block ×3, first 2 shown]
	v_sub_f32_e32 v21, v13, v9
	v_fma_f32 v11, v11, 2.0, -v18
	v_dual_sub_f32 v16, v4, v20 :: v_dual_add_f32 v5, v22, v18
	v_sub_f32_e32 v7, v23, v7
	s_delay_alu instid0(VALU_DEP_2) | instskip(SKIP_1) | instid1(VALU_DEP_4)
	v_fma_f32 v12, v22, 2.0, -v5
	v_fma_f32 v22, v19, 2.0, -v17
	v_dual_sub_f32 v19, v6, v11 :: v_dual_sub_f32 v18, v24, v16
	v_fma_f32 v8, v4, 2.0, -v16
	v_fma_f32 v16, v23, 2.0, -v7
	s_delay_alu instid0(VALU_DEP_3) | instskip(NEXT) | instid1(VALU_DEP_1)
	v_fma_f32 v23, v24, 2.0, -v18
	v_fmamk_f32 v9, v23, 0xbf3504f3, v16
	s_delay_alu instid0(VALU_DEP_4) | instskip(NEXT) | instid1(VALU_DEP_2)
	v_sub_f32_e32 v20, v3, v8
	v_dual_fmamk_f32 v8, v22, 0xbf3504f3, v12 :: v_dual_fmac_f32 v9, 0xbf3504f3, v22
	s_delay_alu instid0(VALU_DEP_2) | instskip(NEXT) | instid1(VALU_DEP_2)
	v_dual_sub_f32 v4, v1, v10 :: v_dual_sub_f32 v11, v19, v20
	v_fmac_f32_e32 v8, 0x3f3504f3, v23
	s_delay_alu instid0(VALU_DEP_2)
	v_add_f32_e32 v10, v4, v21
	v_cmpx_gt_u32_e32 35, v15
	s_cbranch_execz .LBB0_18
; %bb.17:
	v_fmamk_f32 v22, v17, 0x3f3504f3, v5
	v_fmamk_f32 v23, v18, 0x3f3504f3, v7
	v_fma_f32 v24, v6, 2.0, -v19
	v_fma_f32 v13, v13, 2.0, -v21
	;; [unrolled: 1-line block ×3, first 2 shown]
	v_fmac_f32_e32 v22, 0x3f3504f3, v18
	v_fma_f32 v3, v3, 2.0, -v20
	v_fmac_f32_e32 v23, 0xbf3504f3, v17
	v_sub_f32_e32 v18, v24, v13
	v_fma_f32 v1, v19, 2.0, -v11
	v_fma_f32 v13, v16, 2.0, -v9
	v_sub_f32_e32 v17, v21, v3
	v_mul_i32_i24_e32 v3, 56, v15
	v_fma_f32 v12, v12, 2.0, -v8
	v_fma_f32 v20, v24, 2.0, -v18
	;; [unrolled: 1-line block ×4, first 2 shown]
	v_add3_u32 v3, v0, v3, v2
	v_fma_f32 v5, v5, 2.0, -v22
	v_fma_f32 v0, v4, 2.0, -v10
	ds_store_2addr_b64 v3, v[19:20], v[12:13] offset1:1
	ds_store_2addr_b64 v3, v[0:1], v[5:6] offset0:2 offset1:3
	ds_store_2addr_b64 v3, v[17:18], v[8:9] offset0:4 offset1:5
	;; [unrolled: 1-line block ×3, first 2 shown]
.LBB0_18:
	s_wait_alu 0xfffe
	s_or_b32 exec_lo, exec_lo, s7
	v_and_b32_e32 v0, 7, v15
	global_wb scope:SCOPE_SE
	s_wait_dscnt 0x0
	s_barrier_signal -1
	s_barrier_wait -1
	global_inv scope:SCOPE_SE
	v_lshlrev_b32_e32 v1, 5, v0
	v_cmp_gt_u32_e32 vcc_lo, 40, v15
	s_clause 0x1
	global_load_b128 v[3:6], v1, s[4:5]
	global_load_b128 v[16:19], v1, s[4:5] offset:16
	ds_load_2addr_b64 v[24:27], v64 offset0:168 offset1:224
	v_lshrrev_b32_e32 v1, 3, v15
	ds_load_2addr_b64 v[20:23], v64 offset0:56 offset1:112
	v_mul_lo_u32 v1, v1, 40
	s_wait_loadcnt_dscnt 0x1
	v_mul_f32_e32 v13, v17, v24
	s_delay_alu instid0(VALU_DEP_2) | instskip(SKIP_2) | instid1(VALU_DEP_3)
	v_or_b32_e32 v0, v1, v0
	v_dual_mul_f32 v12, v17, v25 :: v_dual_mul_f32 v17, v19, v27
	v_mul_f32_e32 v19, v19, v26
	v_lshlrev_b32_e32 v7, 3, v0
	ds_load_2addr_b32 v[0:1], v65 offset1:1
	v_fmac_f32_e32 v12, v16, v24
	v_fma_f32 v19, v18, v27, -v19
	global_wb scope:SCOPE_SE
	s_wait_dscnt 0x0
	v_add3_u32 v28, 0, v7, v2
	v_mul_f32_e32 v2, v4, v21
	v_dual_mul_f32 v4, v4, v20 :: v_dual_mul_f32 v7, v6, v23
	v_mul_f32_e32 v6, v6, v22
	s_barrier_signal -1
	s_delay_alu instid0(VALU_DEP_3) | instskip(NEXT) | instid1(VALU_DEP_3)
	v_fmac_f32_e32 v2, v3, v20
	v_fma_f32 v3, v3, v21, -v4
	v_fmac_f32_e32 v7, v5, v22
	v_fma_f32 v4, v5, v23, -v6
	v_fma_f32 v5, v16, v25, -v13
	s_delay_alu instid0(VALU_DEP_4) | instskip(NEXT) | instid1(VALU_DEP_4)
	v_dual_fmac_f32 v17, v18, v26 :: v_dual_sub_f32 v16, v3, v19
	v_dual_add_f32 v13, v7, v12 :: v_dual_sub_f32 v20, v2, v7
	v_sub_f32_e32 v23, v7, v2
	s_delay_alu instid0(VALU_DEP_3)
	v_sub_f32_e32 v21, v17, v12
	v_add_f32_e32 v6, v2, v0
	v_dual_add_f32 v22, v2, v17 :: v_dual_add_f32 v25, v1, v3
	v_dual_sub_f32 v24, v12, v17 :: v_dual_sub_f32 v29, v7, v12
	v_add_f32_e32 v26, v4, v5
	v_add_f32_e32 v32, v3, v19
	v_sub_f32_e32 v18, v4, v5
	v_dual_sub_f32 v27, v2, v17 :: v_dual_sub_f32 v30, v3, v4
	v_dual_sub_f32 v31, v19, v5 :: v_dual_sub_f32 v34, v5, v19
	v_add_f32_e32 v6, v6, v7
	v_sub_f32_e32 v33, v4, v3
	v_fma_f32 v2, -0.5, v13, v0
	v_add_f32_e32 v20, v20, v21
	v_fma_f32 v0, -0.5, v22, v0
	v_add_f32_e32 v21, v23, v24
	v_add_f32_e32 v7, v25, v4
	v_fma_f32 v3, -0.5, v26, v1
	v_dual_fmac_f32 v1, -0.5, v32 :: v_dual_add_f32 v22, v30, v31
	s_delay_alu instid0(VALU_DEP_3) | instskip(SKIP_1) | instid1(VALU_DEP_4)
	v_dual_add_f32 v12, v6, v12 :: v_dual_add_f32 v13, v7, v5
	v_fmamk_f32 v4, v16, 0xbf737871, v2
	v_dual_fmac_f32 v2, 0x3f737871, v16 :: v_dual_fmamk_f32 v5, v27, 0x3f737871, v3
	v_fmamk_f32 v6, v18, 0x3f737871, v0
	v_dual_fmac_f32 v0, 0xbf737871, v18 :: v_dual_fmamk_f32 v7, v29, 0xbf737871, v1
	v_fmac_f32_e32 v3, 0xbf737871, v27
	v_fmac_f32_e32 v1, 0x3f737871, v29
	v_add_f32_e32 v23, v33, v34
	v_fmac_f32_e32 v4, 0xbf167918, v18
	v_dual_fmac_f32 v2, 0x3f167918, v18 :: v_dual_fmac_f32 v5, 0x3f167918, v29
	s_delay_alu instid0(VALU_DEP_4) | instskip(SKIP_4) | instid1(VALU_DEP_4)
	v_dual_fmac_f32 v6, 0xbf167918, v16 :: v_dual_fmac_f32 v1, 0xbf167918, v27
	v_dual_fmac_f32 v0, 0x3f167918, v16 :: v_dual_fmac_f32 v7, 0x3f167918, v27
	v_fmac_f32_e32 v3, 0xbf167918, v29
	v_dual_add_f32 v12, v12, v17 :: v_dual_add_f32 v13, v13, v19
	v_dual_fmac_f32 v4, 0x3e9e377a, v20 :: v_dual_fmac_f32 v5, 0x3e9e377a, v22
	v_dual_fmac_f32 v2, 0x3e9e377a, v20 :: v_dual_fmac_f32 v7, 0x3e9e377a, v23
	;; [unrolled: 1-line block ×4, first 2 shown]
	s_barrier_wait -1
	global_inv scope:SCOPE_SE
	ds_store_2addr_b64 v28, v[12:13], v[4:5] offset1:8
	ds_store_2addr_b64 v28, v[6:7], v[0:1] offset0:16 offset1:24
	ds_store_b64 v28, v[2:3] offset:256
	global_wb scope:SCOPE_SE
	s_wait_dscnt 0x0
	s_barrier_signal -1
	s_barrier_wait -1
	global_inv scope:SCOPE_SE
	s_and_saveexec_b32 s7, vcc_lo
	s_cbranch_execz .LBB0_20
; %bb.19:
	ds_load_2addr_b64 v[8:11], v64 offset0:200 offset1:240
	ds_load_b64 v[12:13], v65
	ds_load_2addr_b64 v[4:7], v64 offset0:40 offset1:80
	ds_load_2addr_b64 v[0:3], v64 offset0:120 offset1:160
.LBB0_20:
	s_wait_alu 0xfffe
	s_or_b32 exec_lo, exec_lo, s7
	v_subrev_nc_u32_e32 v16, 40, v15
	v_mul_lo_u32 v34, v14, 40
	s_add_co_i32 s7, 0, 0x3d40
	s_delay_alu instid0(VALU_DEP_2) | instskip(NEXT) | instid1(VALU_DEP_1)
	v_cndmask_b32_e32 v66, v16, v15, vcc_lo
	v_mul_lo_u32 v15, v66, v14
	s_delay_alu instid0(VALU_DEP_1) | instskip(SKIP_3) | instid1(VALU_DEP_4)
	v_and_b32_e32 v14, 63, v15
	v_lshrrev_b32_e32 v16, 3, v15
	v_lshrrev_b32_e32 v17, 9, v15
	v_add_nc_u32_e32 v15, v15, v34
	v_lshl_add_u32 v14, v14, 3, 0
	s_delay_alu instid0(VALU_DEP_4) | instskip(NEXT) | instid1(VALU_DEP_4)
	v_and_b32_e32 v16, 0x1f8, v16
	v_and_b32_e32 v17, 0x1f8, v17
	s_delay_alu instid0(VALU_DEP_4)
	v_and_b32_e32 v18, 63, v15
	v_lshrrev_b32_e32 v19, 3, v15
	v_lshrrev_b32_e32 v20, 9, v15
	v_add_nc_u32_e32 v15, v15, v34
	s_wait_alu 0xfffe
	v_add_nc_u32_e32 v16, s7, v16
	v_add_nc_u32_e32 v17, s7, v17
	v_and_b32_e32 v24, 0x1f8, v19
	v_and_b32_e32 v25, 0x1f8, v20
	v_and_b32_e32 v26, 63, v15
	v_add_nc_u32_e32 v29, v15, v34
	v_lshrrev_b32_e32 v27, 3, v15
	v_lshl_add_u32 v22, v18, 3, 0
	v_lshrrev_b32_e32 v28, 9, v15
	ds_load_b64 v[18:19], v14 offset:15680
	ds_load_b64 v[20:21], v16 offset:512
	ds_load_b64 v[14:15], v17 offset:1024
	ds_load_b64 v[22:23], v22 offset:15680
	v_add_nc_u32_e32 v16, s7, v24
	v_lshl_add_u32 v24, v26, 3, 0
	v_lshrrev_b32_e32 v26, 3, v29
	v_add_nc_u32_e32 v17, s7, v25
	v_and_b32_e32 v25, 0x1f8, v27
	v_and_b32_e32 v35, 63, v29
	v_lshrrev_b32_e32 v36, 9, v29
	v_add_nc_u32_e32 v29, v29, v34
	v_and_b32_e32 v28, 0x1f8, v28
	v_and_b32_e32 v37, 0x1f8, v26
	v_add_nc_u32_e32 v25, s7, v25
	ds_load_b64 v[26:27], v16 offset:512
	ds_load_b64 v[16:17], v17 offset:1024
	;; [unrolled: 1-line block ×4, first 2 shown]
	v_and_b32_e32 v25, 0x1f8, v36
	v_lshrrev_b32_e32 v36, 3, v29
	v_add_nc_u32_e32 v24, s7, v28
	v_lshl_add_u32 v28, v35, 3, 0
	v_add_nc_u32_e32 v35, s7, v37
	v_lshrrev_b32_e32 v37, 9, v29
	v_add_nc_u32_e32 v40, v29, v34
	v_and_b32_e32 v42, 63, v29
	v_and_b32_e32 v43, 0x1f8, v36
	v_add_nc_u32_e32 v41, s7, v25
	v_and_b32_e32 v44, 0x1f8, v37
	v_and_b32_e32 v45, 63, v40
	ds_load_b64 v[24:25], v24 offset:1024
	ds_load_b64 v[36:37], v28 offset:15680
	;; [unrolled: 1-line block ×4, first 2 shown]
	v_lshl_add_u32 v35, v42, 3, 0
	v_lshrrev_b32_e32 v50, 3, v40
	v_lshrrev_b32_e32 v51, 9, v40
	v_add_nc_u32_e32 v40, v40, v34
	v_add_nc_u32_e32 v41, s7, v43
	;; [unrolled: 1-line block ×3, first 2 shown]
	v_lshl_add_u32 v45, v45, 3, 0
	ds_load_b64 v[42:43], v35 offset:15680
	ds_load_b64 v[46:47], v41 offset:512
	;; [unrolled: 1-line block ×4, first 2 shown]
	v_lshrrev_b32_e32 v41, 3, v40
	v_lshrrev_b32_e32 v44, 9, v40
	v_and_b32_e32 v45, 0x1f8, v50
	v_and_b32_e32 v50, 0x1f8, v51
	;; [unrolled: 1-line block ×5, first 2 shown]
	v_add_nc_u32_e32 v45, s7, v45
	v_add_nc_u32_e32 v52, s7, v50
	v_lshl_add_u32 v53, v40, 3, 0
	v_add_nc_u32_e32 v54, s7, v41
	v_add_nc_u32_e32 v44, s7, v44
	ds_load_b64 v[50:51], v45 offset:512
	ds_load_b64 v[40:41], v52 offset:1024
	;; [unrolled: 1-line block ×5, first 2 shown]
	global_wb scope:SCOPE_SE
	s_wait_dscnt 0x0
	s_barrier_signal -1
	s_barrier_wait -1
	global_inv scope:SCOPE_SE
	s_and_saveexec_b32 s7, vcc_lo
	s_cbranch_execz .LBB0_22
; %bb.21:
	v_mul_i32_i24_e32 v66, 6, v66
	v_dual_mov_b32 v67, 0 :: v_dual_mul_f32 v78, v53, v55
	v_mul_f32_e32 v80, v43, v47
	v_dual_mul_f32 v55, v52, v55 :: v_dual_mul_f32 v82, v31, v33
	s_delay_alu instid0(VALU_DEP_3)
	v_lshlrev_b64_e32 v[66:67], 3, v[66:67]
	v_dual_mul_f32 v79, v49, v51 :: v_dual_mul_f32 v84, v19, v21
	v_mul_f32_e32 v33, v30, v33
	v_fma_f32 v52, v52, v54, -v78
	v_mul_f32_e32 v47, v42, v47
	v_add_co_u32 v74, vcc_lo, s4, v66
	s_wait_alu 0xfffd
	v_add_co_ci_u32_e32 v75, vcc_lo, s5, v67, vcc_lo
	v_fma_f32 v42, v42, v46, -v80
	v_fmac_f32_e32 v55, v53, v54
	s_clause 0x2
	global_load_b128 v[66:69], v[74:75], off offset:256
	global_load_b128 v[70:73], v[74:75], off offset:288
	;; [unrolled: 1-line block ×3, first 2 shown]
	v_mul_f32_e32 v83, v23, v27
	v_mul_f32_e32 v27, v22, v27
	v_fma_f32 v30, v30, v32, -v82
	v_dual_fmac_f32 v33, v31, v32 :: v_dual_mul_f32 v32, v42, v35
	v_mul_f32_e32 v21, v18, v21
	s_delay_alu instid0(VALU_DEP_4)
	v_fmac_f32_e32 v27, v23, v26
	v_mul_f32_e32 v51, v48, v51
	v_fma_f32 v48, v48, v50, -v79
	v_mul_f32_e32 v81, v37, v39
	v_mul_f32_e32 v39, v36, v39
	v_fma_f32 v22, v22, v26, -v83
	v_fma_f32 v18, v18, v20, -v84
	v_dual_fmac_f32 v21, v19, v20 :: v_dual_mul_f32 v20, v52, v45
	s_delay_alu instid0(VALU_DEP_4) | instskip(SKIP_4) | instid1(VALU_DEP_4)
	v_dual_fmac_f32 v39, v37, v38 :: v_dual_mul_f32 v26, v48, v41
	v_fmac_f32_e32 v47, v43, v46
	v_fma_f32 v36, v36, v38, -v81
	v_dual_mul_f32 v38, v27, v17 :: v_dual_fmac_f32 v51, v49, v50
	v_mul_f32_e32 v17, v22, v17
	v_dual_fmac_f32 v32, v34, v47 :: v_dual_mul_f32 v19, v55, v45
	s_delay_alu instid0(VALU_DEP_3) | instskip(NEXT) | instid1(VALU_DEP_4)
	v_fma_f32 v22, v16, v22, -v38
	v_mul_f32_e32 v23, v51, v41
	v_mul_f32_e32 v41, v21, v15
	v_mul_f32_e32 v15, v18, v15
	v_fmac_f32_e32 v17, v16, v27
	v_fmac_f32_e32 v26, v40, v51
	v_mul_f32_e32 v31, v47, v35
	v_fma_f32 v16, v14, v18, -v41
	v_dual_fmac_f32 v15, v14, v21 :: v_dual_fmac_f32 v20, v44, v55
	s_delay_alu instid0(VALU_DEP_3)
	v_fma_f32 v31, v34, v42, -v31
	s_wait_loadcnt 0x2
	v_mul_f32_e32 v14, v5, v67
	s_wait_loadcnt 0x1
	v_mul_f32_e32 v18, v11, v73
	v_mul_f32_e32 v27, v7, v69
	s_wait_loadcnt 0x0
	v_dual_mul_f32 v21, v3, v77 :: v_dual_mul_f32 v38, v8, v71
	v_fmac_f32_e32 v14, v4, v66
	v_dual_fmac_f32 v18, v10, v72 :: v_dual_mul_f32 v35, v39, v29
	v_mul_f32_e32 v37, v33, v25
	v_fmac_f32_e32 v27, v6, v68
	v_mul_f32_e32 v29, v36, v29
	v_fma_f32 v19, v44, v52, -v19
	v_fma_f32 v34, v28, v36, -v35
	v_mul_f32_e32 v36, v0, v75
	v_mul_f32_e32 v35, v4, v67
	v_fmac_f32_e32 v29, v28, v39
	v_mul_f32_e32 v39, v6, v69
	v_sub_f32_e32 v6, v14, v18
	v_add_f32_e32 v14, v14, v18
	v_fma_f32 v28, v24, v30, -v37
	v_mul_f32_e32 v37, v2, v77
	v_fma_f32 v4, v9, v70, -v38
	v_fma_f32 v23, v40, v48, -v23
	s_delay_alu instid0(VALU_DEP_3) | instskip(SKIP_1) | instid1(VALU_DEP_1)
	v_fma_f32 v3, v3, v76, -v37
	v_dual_mul_f32 v25, v30, v25 :: v_dual_mul_f32 v30, v9, v71
	v_dual_fmac_f32 v25, v24, v33 :: v_dual_mul_f32 v24, v1, v75
	v_mul_f32_e32 v33, v10, v73
	v_fma_f32 v1, v1, v74, -v36
	s_delay_alu instid0(VALU_DEP_4) | instskip(NEXT) | instid1(VALU_DEP_4)
	v_fmac_f32_e32 v30, v8, v70
	v_fmac_f32_e32 v24, v0, v74
	s_delay_alu instid0(VALU_DEP_4) | instskip(NEXT) | instid1(VALU_DEP_4)
	v_fma_f32 v0, v11, v72, -v33
	v_dual_add_f32 v10, v1, v3 :: v_dual_sub_f32 v1, v3, v1
	v_fmac_f32_e32 v21, v2, v76
	v_fma_f32 v2, v5, v66, -v35
	v_fma_f32 v5, v7, v68, -v39
	s_delay_alu instid0(VALU_DEP_2) | instskip(SKIP_1) | instid1(VALU_DEP_3)
	v_dual_sub_f32 v8, v27, v30 :: v_dual_add_f32 v9, v2, v0
	v_sub_f32_e32 v0, v2, v0
	v_sub_f32_e32 v2, v5, v4
	s_delay_alu instid0(VALU_DEP_2) | instskip(SKIP_1) | instid1(VALU_DEP_3)
	v_dual_sub_f32 v36, v0, v1 :: v_dual_sub_f32 v7, v21, v24
	v_dual_add_f32 v18, v24, v21 :: v_dual_add_f32 v11, v5, v4
	v_sub_f32_e32 v37, v1, v2
	v_add_f32_e32 v1, v1, v2
	s_delay_alu instid0(VALU_DEP_4)
	v_add_f32_e32 v5, v7, v8
	v_sub_f32_e32 v4, v7, v8
	v_sub_f32_e32 v2, v2, v0
	;; [unrolled: 1-line block ×3, first 2 shown]
	v_add_f32_e32 v0, v1, v0
	v_add_f32_e32 v5, v5, v6
	v_sub_f32_e32 v3, v6, v7
	v_sub_f32_e32 v7, v9, v10
	;; [unrolled: 1-line block ×3, first 2 shown]
	v_mul_f32_e32 v4, 0x3f08b237, v4
	s_delay_alu instid0(VALU_DEP_3) | instskip(SKIP_1) | instid1(VALU_DEP_4)
	v_mul_f32_e32 v6, 0x3f4a47b2, v7
	v_mul_f32_e32 v7, 0x3d64c772, v24
	;; [unrolled: 1-line block ×3, first 2 shown]
	s_delay_alu instid0(VALU_DEP_3) | instskip(SKIP_1) | instid1(VALU_DEP_2)
	v_dual_fmamk_f32 v24, v24, 0x3d64c772, v6 :: v_dual_add_f32 v21, v27, v30
	v_sub_f32_e32 v30, v14, v18
	v_add_f32_e32 v35, v21, v14
	v_sub_f32_e32 v33, v18, v21
	s_delay_alu instid0(VALU_DEP_2) | instskip(SKIP_1) | instid1(VALU_DEP_2)
	v_dual_add_f32 v18, v18, v35 :: v_dual_fmamk_f32 v35, v3, 0xbeae86e6, v4
	v_fma_f32 v4, 0xbf5ff5aa, v8, -v4
	v_dual_add_f32 v12, v12, v18 :: v_dual_add_f32 v27, v11, v9
	v_sub_f32_e32 v9, v11, v9
	s_delay_alu instid0(VALU_DEP_3) | instskip(SKIP_1) | instid1(VALU_DEP_4)
	v_fmac_f32_e32 v4, 0xbee1c552, v5
	v_fma_f32 v3, 0x3eae86e6, v3, -v1
	v_add_f32_e32 v10, v10, v27
	s_delay_alu instid0(VALU_DEP_4) | instskip(SKIP_1) | instid1(VALU_DEP_3)
	v_fma_f32 v1, 0xbf3bfb3b, v9, -v6
	v_fma_f32 v7, 0x3f3bfb3b, v9, -v7
	v_add_f32_e32 v13, v13, v10
	s_delay_alu instid0(VALU_DEP_1) | instskip(SKIP_2) | instid1(VALU_DEP_3)
	v_fmamk_f32 v9, v10, 0xbf955555, v13
	v_dual_fmamk_f32 v10, v18, 0xbf955555, v12 :: v_dual_sub_f32 v11, v21, v14
	v_mul_f32_e32 v14, 0x3f4a47b2, v30
	v_dual_mul_f32 v30, 0xbf5ff5aa, v2 :: v_dual_add_f32 v7, v7, v9
	v_add_f32_e32 v18, v1, v9
	s_delay_alu instid0(VALU_DEP_3) | instskip(NEXT) | instid1(VALU_DEP_1)
	v_fma_f32 v6, 0xbf3bfb3b, v11, -v14
	v_dual_add_f32 v6, v6, v10 :: v_dual_mul_f32 v27, 0x3f08b237, v37
	s_delay_alu instid0(VALU_DEP_1) | instskip(NEXT) | instid1(VALU_DEP_1)
	v_fma_f32 v2, 0xbf5ff5aa, v2, -v27
	v_fmac_f32_e32 v2, 0xbee1c552, v0
	v_mul_f32_e32 v21, 0x3d64c772, v33
	s_delay_alu instid0(VALU_DEP_1) | instskip(SKIP_3) | instid1(VALU_DEP_4)
	v_fma_f32 v8, 0x3f3bfb3b, v11, -v21
	v_sub_f32_e32 v21, v7, v4
	v_fmamk_f32 v37, v36, 0xbeae86e6, v27
	v_add_f32_e32 v27, v4, v7
	v_dual_add_f32 v8, v8, v10 :: v_dual_fmamk_f32 v33, v33, 0x3d64c772, v14
	v_fma_f32 v14, 0x3eae86e6, v36, -v30
	s_delay_alu instid0(VALU_DEP_2)
	v_sub_f32_e32 v30, v8, v2
	v_dual_add_f32 v11, v24, v9 :: v_dual_add_f32 v24, v2, v8
	v_mul_f32_e32 v8, v27, v29
	v_fmac_f32_e32 v35, 0xbee1c552, v5
	v_fmac_f32_e32 v3, 0xbee1c552, v5
	v_mul_f32_e32 v5, v12, v15
	v_fmac_f32_e32 v37, 0xbee1c552, v0
	v_fmac_f32_e32 v14, 0xbee1c552, v0
	v_mul_f32_e32 v0, v13, v15
	v_fmac_f32_e32 v8, v30, v34
	v_fma_f32 v1, v13, v16, -v5
	v_add_f32_e32 v13, v3, v18
	s_delay_alu instid0(VALU_DEP_4) | instskip(SKIP_2) | instid1(VALU_DEP_4)
	v_dual_add_f32 v5, v35, v11 :: v_dual_fmac_f32 v0, v12, v16
	v_sub_f32_e32 v16, v6, v14
	v_add_f32_e32 v14, v14, v6
	v_mul_f32_e32 v4, v13, v26
	v_add_f32_e32 v15, v33, v10
	v_mul_f32_e32 v6, v21, v32
	v_mul_f32_e32 v2, v5, v20
	v_sub_f32_e32 v18, v18, v3
	v_fmac_f32_e32 v4, v16, v23
	v_mul_f32_e32 v7, v16, v26
	v_dual_fmac_f32 v6, v24, v31 :: v_dual_sub_f32 v9, v15, v37
	v_dual_add_f32 v15, v37, v15 :: v_dual_mul_f32 v26, v14, v25
	v_mul_f32_e32 v10, v18, v25
	s_delay_alu instid0(VALU_DEP_3)
	v_fmac_f32_e32 v2, v9, v19
	v_sub_f32_e32 v33, v11, v35
	v_mul_f32_e32 v3, v9, v20
	v_mul_f32_e32 v11, v24, v32
	;; [unrolled: 1-line block ×5, first 2 shown]
	v_fma_f32 v3, v5, v19, -v3
	v_fma_f32 v5, v13, v23, -v7
	;; [unrolled: 1-line block ×4, first 2 shown]
	v_fmac_f32_e32 v10, v14, v28
	v_fma_f32 v13, v33, v22, -v25
	v_fmac_f32_e32 v12, v15, v22
	v_fma_f32 v9, v27, v34, -v20
	ds_store_b64 v65, v[0:1]
	ds_store_2addr_b64 v64, v[12:13], v[10:11] offset0:40 offset1:80
	ds_store_2addr_b64 v64, v[8:9], v[6:7] offset0:120 offset1:160
	;; [unrolled: 1-line block ×3, first 2 shown]
.LBB0_22:
	s_wait_alu 0xfffe
	s_or_b32 exec_lo, exec_lo, s7
	global_wb scope:SCOPE_SE
	s_wait_dscnt 0x0
	s_barrier_signal -1
	s_barrier_wait -1
	global_inv scope:SCOPE_SE
	s_and_saveexec_b32 s4, s6
	s_cbranch_execz .LBB0_24
; %bb.23:
	v_mad_co_u64_u32 v[4:5], null, s14, v61, 0
	v_mad_co_u64_u32 v[6:7], null, s12, v58, 0
	v_mad_co_u64_u32 v[8:9], null, s12, v59, 0
	v_mad_co_u64_u32 v[10:11], null, s12, v60, 0
	s_delay_alu instid0(VALU_DEP_4) | instskip(SKIP_3) | instid1(VALU_DEP_3)
	v_mov_b32_e32 v0, v5
	v_mad_co_u64_u32 v[12:13], null, s12, v57, 0
	s_lshl_b64 s[2:3], s[2:3], 3
	v_add3_u32 v21, 0, v63, v62
	v_mad_co_u64_u32 v[0:1], null, s15, v61, v[0:1]
	v_mov_b32_e32 v1, v7
	v_mov_b32_e32 v7, v9
	;; [unrolled: 1-line block ×3, first 2 shown]
	s_wait_alu 0xfffe
	s_add_nc_u64 s[0:1], s[0:1], s[2:3]
	v_mad_co_u64_u32 v[14:15], null, s13, v58, v[1:2]
	v_mov_b32_e32 v5, v0
	v_mad_co_u64_u32 v[15:16], null, s13, v59, v[7:8]
	v_mad_co_u64_u32 v[16:17], null, s13, v60, v[9:10]
	s_delay_alu instid0(VALU_DEP_3)
	v_lshlrev_b64_e32 v[4:5], 3, v[4:5]
	v_mov_b32_e32 v7, v14
	ds_load_2addr_b64 v[0:3], v21 offset1:56
	v_mov_b32_e32 v9, v15
	v_mad_co_u64_u32 v[14:15], null, s12, v56, 0
	v_add_co_u32 v22, vcc_lo, s0, v4
	s_wait_alu 0xfffd
	v_add_co_ci_u32_e32 v23, vcc_lo, s1, v5, vcc_lo
	v_lshlrev_b64_e32 v[4:5], 3, v[6:7]
	s_delay_alu instid0(VALU_DEP_4) | instskip(SKIP_2) | instid1(VALU_DEP_3)
	v_dual_mov_b32 v6, v13 :: v_dual_mov_b32 v13, v15
	v_mov_b32_e32 v11, v16
	v_lshlrev_b64_e32 v[8:9], 3, v[8:9]
	v_mad_co_u64_u32 v[16:17], null, s13, v57, v[6:7]
	s_delay_alu instid0(VALU_DEP_4)
	v_mad_co_u64_u32 v[19:20], null, s13, v56, v[13:14]
	v_add_co_u32 v17, vcc_lo, v22, v4
	s_wait_alu 0xfffd
	v_add_co_ci_u32_e32 v18, vcc_lo, v23, v5, vcc_lo
	ds_load_2addr_b64 v[4:7], v21 offset0:112 offset1:168
	v_mov_b32_e32 v13, v16
	ds_load_b64 v[20:21], v21 offset:1792
	v_lshlrev_b64_e32 v[10:11], 3, v[10:11]
	v_mov_b32_e32 v15, v19
	v_add_co_u32 v8, vcc_lo, v22, v8
	v_lshlrev_b64_e32 v[12:13], 3, v[12:13]
	s_wait_alu 0xfffd
	v_add_co_ci_u32_e32 v9, vcc_lo, v23, v9, vcc_lo
	v_add_co_u32 v10, vcc_lo, v22, v10
	v_lshlrev_b64_e32 v[14:15], 3, v[14:15]
	s_wait_alu 0xfffd
	v_add_co_ci_u32_e32 v11, vcc_lo, v23, v11, vcc_lo
	v_add_co_u32 v12, vcc_lo, v22, v12
	s_wait_alu 0xfffd
	v_add_co_ci_u32_e32 v13, vcc_lo, v23, v13, vcc_lo
	v_add_co_u32 v14, vcc_lo, v22, v14
	s_wait_alu 0xfffd
	v_add_co_ci_u32_e32 v15, vcc_lo, v23, v15, vcc_lo
	s_wait_dscnt 0x2
	s_clause 0x1
	global_store_b64 v[17:18], v[0:1], off
	global_store_b64 v[8:9], v[2:3], off
	s_wait_dscnt 0x1
	s_clause 0x1
	global_store_b64 v[10:11], v[4:5], off
	global_store_b64 v[12:13], v[6:7], off
	s_wait_dscnt 0x0
	global_store_b64 v[14:15], v[20:21], off
.LBB0_24:
	s_nop 0
	s_sendmsg sendmsg(MSG_DEALLOC_VGPRS)
	s_endpgm
	.section	.rodata,"a",@progbits
	.p2align	6, 0x0
	.amdhsa_kernel fft_rtc_back_len280_factors_8_5_7_wgs_392_tpt_56_sp_ip_CI_sbcc_twdbase6_3step
		.amdhsa_group_segment_fixed_size 0
		.amdhsa_private_segment_fixed_size 0
		.amdhsa_kernarg_size 96
		.amdhsa_user_sgpr_count 2
		.amdhsa_user_sgpr_dispatch_ptr 0
		.amdhsa_user_sgpr_queue_ptr 0
		.amdhsa_user_sgpr_kernarg_segment_ptr 1
		.amdhsa_user_sgpr_dispatch_id 0
		.amdhsa_user_sgpr_private_segment_size 0
		.amdhsa_wavefront_size32 1
		.amdhsa_uses_dynamic_stack 0
		.amdhsa_enable_private_segment 0
		.amdhsa_system_sgpr_workgroup_id_x 1
		.amdhsa_system_sgpr_workgroup_id_y 0
		.amdhsa_system_sgpr_workgroup_id_z 0
		.amdhsa_system_sgpr_workgroup_info 0
		.amdhsa_system_vgpr_workitem_id 0
		.amdhsa_next_free_vgpr 85
		.amdhsa_next_free_sgpr 49
		.amdhsa_reserve_vcc 1
		.amdhsa_float_round_mode_32 0
		.amdhsa_float_round_mode_16_64 0
		.amdhsa_float_denorm_mode_32 3
		.amdhsa_float_denorm_mode_16_64 3
		.amdhsa_fp16_overflow 0
		.amdhsa_workgroup_processor_mode 1
		.amdhsa_memory_ordered 1
		.amdhsa_forward_progress 0
		.amdhsa_round_robin_scheduling 0
		.amdhsa_exception_fp_ieee_invalid_op 0
		.amdhsa_exception_fp_denorm_src 0
		.amdhsa_exception_fp_ieee_div_zero 0
		.amdhsa_exception_fp_ieee_overflow 0
		.amdhsa_exception_fp_ieee_underflow 0
		.amdhsa_exception_fp_ieee_inexact 0
		.amdhsa_exception_int_div_zero 0
	.end_amdhsa_kernel
	.text
.Lfunc_end0:
	.size	fft_rtc_back_len280_factors_8_5_7_wgs_392_tpt_56_sp_ip_CI_sbcc_twdbase6_3step, .Lfunc_end0-fft_rtc_back_len280_factors_8_5_7_wgs_392_tpt_56_sp_ip_CI_sbcc_twdbase6_3step
                                        ; -- End function
	.section	.AMDGPU.csdata,"",@progbits
; Kernel info:
; codeLenInByte = 6144
; NumSgprs: 51
; NumVgprs: 85
; ScratchSize: 0
; MemoryBound: 0
; FloatMode: 240
; IeeeMode: 1
; LDSByteSize: 0 bytes/workgroup (compile time only)
; SGPRBlocks: 6
; VGPRBlocks: 10
; NumSGPRsForWavesPerEU: 51
; NumVGPRsForWavesPerEU: 85
; Occupancy: 13
; WaveLimiterHint : 1
; COMPUTE_PGM_RSRC2:SCRATCH_EN: 0
; COMPUTE_PGM_RSRC2:USER_SGPR: 2
; COMPUTE_PGM_RSRC2:TRAP_HANDLER: 0
; COMPUTE_PGM_RSRC2:TGID_X_EN: 1
; COMPUTE_PGM_RSRC2:TGID_Y_EN: 0
; COMPUTE_PGM_RSRC2:TGID_Z_EN: 0
; COMPUTE_PGM_RSRC2:TIDIG_COMP_CNT: 0
	.text
	.p2alignl 7, 3214868480
	.fill 96, 4, 3214868480
	.type	__hip_cuid_eb3b824e443aa162,@object ; @__hip_cuid_eb3b824e443aa162
	.section	.bss,"aw",@nobits
	.globl	__hip_cuid_eb3b824e443aa162
__hip_cuid_eb3b824e443aa162:
	.byte	0                               ; 0x0
	.size	__hip_cuid_eb3b824e443aa162, 1

	.ident	"AMD clang version 19.0.0git (https://github.com/RadeonOpenCompute/llvm-project roc-6.4.0 25133 c7fe45cf4b819c5991fe208aaa96edf142730f1d)"
	.section	".note.GNU-stack","",@progbits
	.addrsig
	.addrsig_sym __hip_cuid_eb3b824e443aa162
	.amdgpu_metadata
---
amdhsa.kernels:
  - .args:
      - .actual_access:  read_only
        .address_space:  global
        .offset:         0
        .size:           8
        .value_kind:     global_buffer
      - .address_space:  global
        .offset:         8
        .size:           8
        .value_kind:     global_buffer
      - .offset:         16
        .size:           8
        .value_kind:     by_value
      - .actual_access:  read_only
        .address_space:  global
        .offset:         24
        .size:           8
        .value_kind:     global_buffer
      - .actual_access:  read_only
        .address_space:  global
        .offset:         32
        .size:           8
        .value_kind:     global_buffer
      - .offset:         40
        .size:           8
        .value_kind:     by_value
      - .actual_access:  read_only
        .address_space:  global
        .offset:         48
        .size:           8
        .value_kind:     global_buffer
      - .actual_access:  read_only
        .address_space:  global
        .offset:         56
        .size:           8
        .value_kind:     global_buffer
      - .offset:         64
        .size:           4
        .value_kind:     by_value
      - .actual_access:  read_only
        .address_space:  global
        .offset:         72
        .size:           8
        .value_kind:     global_buffer
      - .actual_access:  read_only
        .address_space:  global
        .offset:         80
        .size:           8
        .value_kind:     global_buffer
      - .address_space:  global
        .offset:         88
        .size:           8
        .value_kind:     global_buffer
    .group_segment_fixed_size: 0
    .kernarg_segment_align: 8
    .kernarg_segment_size: 96
    .language:       OpenCL C
    .language_version:
      - 2
      - 0
    .max_flat_workgroup_size: 392
    .name:           fft_rtc_back_len280_factors_8_5_7_wgs_392_tpt_56_sp_ip_CI_sbcc_twdbase6_3step
    .private_segment_fixed_size: 0
    .sgpr_count:     51
    .sgpr_spill_count: 0
    .symbol:         fft_rtc_back_len280_factors_8_5_7_wgs_392_tpt_56_sp_ip_CI_sbcc_twdbase6_3step.kd
    .uniform_work_group_size: 1
    .uses_dynamic_stack: false
    .vgpr_count:     85
    .vgpr_spill_count: 0
    .wavefront_size: 32
    .workgroup_processor_mode: 1
amdhsa.target:   amdgcn-amd-amdhsa--gfx1201
amdhsa.version:
  - 1
  - 2
...

	.end_amdgpu_metadata
